;; amdgpu-corpus repo=ROCm/rocm-examples kind=compiled arch=gfx1100 opt=O3
	.text
	.amdgcn_target "amdgcn-amd-amdhsa--gfx1100"
	.amdhsa_code_object_version 6
	.protected	_Z19apply_source_kernel10FDTD_SetupPff ; -- Begin function _Z19apply_source_kernel10FDTD_SetupPff
	.globl	_Z19apply_source_kernel10FDTD_SetupPff
	.p2align	8
	.type	_Z19apply_source_kernel10FDTD_SetupPff,@function
_Z19apply_source_kernel10FDTD_SetupPff: ; @_Z19apply_source_kernel10FDTD_SetupPff
; %bb.0:
	v_or_b32_e32 v0, s15, v0
	s_mov_b32 s3, 0
	s_mov_b32 s2, exec_lo
	s_delay_alu instid0(VALU_DEP_1)
	v_cmpx_eq_u32_e32 0, v0
	s_cbranch_execz .LBB0_2
; %bb.1:
	s_clause 0x2
	s_load_b64 s[8:9], s[0:1], 0x0
	s_load_b128 s[4:7], s[0:1], 0x20
	s_load_b64 s[10:11], s[0:1], 0x40
	v_mov_b32_e32 v0, 0
	s_waitcnt lgkmcnt(0)
	s_mul_i32 s2, s9, s6
	s_delay_alu instid0(SALU_CYCLE_1) | instskip(NEXT) | instid1(SALU_CYCLE_1)
	s_add_i32 s2, s2, s5
	s_mul_i32 s2, s2, s8
	s_delay_alu instid0(SALU_CYCLE_1) | instskip(SKIP_2) | instid1(SALU_CYCLE_1)
	s_add_i32 s2, s2, s4
	s_load_b32 s4, s[0:1], 0x48
	s_lshl_b64 s[2:3], s[2:3], 2
	s_add_u32 s0, s10, s2
	s_addc_u32 s1, s11, s3
	s_load_b32 s2, s[0:1], 0x0
	s_waitcnt lgkmcnt(0)
	v_add_f32_e64 v1, s2, s4
	global_store_b32 v0, v1, s[0:1]
.LBB0_2:
	s_nop 0
	s_sendmsg sendmsg(MSG_DEALLOC_VGPRS)
	s_endpgm
	.section	.rodata,"a",@progbits
	.p2align	6, 0x0
	.amdhsa_kernel _Z19apply_source_kernel10FDTD_SetupPff
		.amdhsa_group_segment_fixed_size 0
		.amdhsa_private_segment_fixed_size 0
		.amdhsa_kernarg_size 76
		.amdhsa_user_sgpr_count 15
		.amdhsa_user_sgpr_dispatch_ptr 0
		.amdhsa_user_sgpr_queue_ptr 0
		.amdhsa_user_sgpr_kernarg_segment_ptr 1
		.amdhsa_user_sgpr_dispatch_id 0
		.amdhsa_user_sgpr_private_segment_size 0
		.amdhsa_wavefront_size32 1
		.amdhsa_uses_dynamic_stack 0
		.amdhsa_enable_private_segment 0
		.amdhsa_system_sgpr_workgroup_id_x 1
		.amdhsa_system_sgpr_workgroup_id_y 0
		.amdhsa_system_sgpr_workgroup_id_z 0
		.amdhsa_system_sgpr_workgroup_info 0
		.amdhsa_system_vgpr_workitem_id 0
		.amdhsa_next_free_vgpr 2
		.amdhsa_next_free_sgpr 16
		.amdhsa_reserve_vcc 0
		.amdhsa_float_round_mode_32 0
		.amdhsa_float_round_mode_16_64 0
		.amdhsa_float_denorm_mode_32 3
		.amdhsa_float_denorm_mode_16_64 3
		.amdhsa_dx10_clamp 1
		.amdhsa_ieee_mode 1
		.amdhsa_fp16_overflow 0
		.amdhsa_workgroup_processor_mode 1
		.amdhsa_memory_ordered 1
		.amdhsa_forward_progress 0
		.amdhsa_shared_vgpr_count 0
		.amdhsa_exception_fp_ieee_invalid_op 0
		.amdhsa_exception_fp_denorm_src 0
		.amdhsa_exception_fp_ieee_div_zero 0
		.amdhsa_exception_fp_ieee_overflow 0
		.amdhsa_exception_fp_ieee_underflow 0
		.amdhsa_exception_fp_ieee_inexact 0
		.amdhsa_exception_int_div_zero 0
	.end_amdhsa_kernel
	.text
.Lfunc_end0:
	.size	_Z19apply_source_kernel10FDTD_SetupPff, .Lfunc_end0-_Z19apply_source_kernel10FDTD_SetupPff
                                        ; -- End function
	.section	.AMDGPU.csdata,"",@progbits
; Kernel info:
; codeLenInByte = 144
; NumSgprs: 16
; NumVgprs: 2
; ScratchSize: 0
; MemoryBound: 0
; FloatMode: 240
; IeeeMode: 1
; LDSByteSize: 0 bytes/workgroup (compile time only)
; SGPRBlocks: 1
; VGPRBlocks: 0
; NumSGPRsForWavesPerEU: 16
; NumVGPRsForWavesPerEU: 2
; Occupancy: 16
; WaveLimiterHint : 0
; COMPUTE_PGM_RSRC2:SCRATCH_EN: 0
; COMPUTE_PGM_RSRC2:USER_SGPR: 15
; COMPUTE_PGM_RSRC2:TRAP_HANDLER: 0
; COMPUTE_PGM_RSRC2:TGID_X_EN: 1
; COMPUTE_PGM_RSRC2:TGID_Y_EN: 0
; COMPUTE_PGM_RSRC2:TGID_Z_EN: 0
; COMPUTE_PGM_RSRC2:TIDIG_COMP_CNT: 0
	.text
	.protected	_Z15updateHx_kernel10FDTD_Setup13Medium_ParamsPfPKfS3_ ; -- Begin function _Z15updateHx_kernel10FDTD_Setup13Medium_ParamsPfPKfS3_
	.globl	_Z15updateHx_kernel10FDTD_Setup13Medium_ParamsPfPKfS3_
	.p2align	8
	.type	_Z15updateHx_kernel10FDTD_Setup13Medium_ParamsPfPKfS3_,@function
_Z15updateHx_kernel10FDTD_Setup13Medium_ParamsPfPKfS3_: ; @_Z15updateHx_kernel10FDTD_Setup13Medium_ParamsPfPKfS3_
; %bb.0:
	s_clause 0x1
	s_load_b64 s[2:3], s[0:1], 0xc4
	s_load_b128 s[8:11], s[0:1], 0x0
	v_and_b32_e32 v2, 0x3ff, v0
	v_bfe_u32 v3, v0, 10, 10
	v_bfe_u32 v4, v0, 20, 10
	s_waitcnt lgkmcnt(0)
	s_lshr_b32 s4, s2, 16
	s_and_b32 s2, s2, 0xffff
	s_delay_alu instid0(SALU_CYCLE_1)
	v_mad_u64_u32 v[0:1], null, s13, s2, v[2:3]
	v_mad_u64_u32 v[1:2], null, s14, s4, v[3:4]
	s_and_b32 s2, s3, 0xffff
	s_add_i32 s3, s10, -1
	v_mad_u64_u32 v[2:3], null, s15, s2, v[4:5]
	s_add_i32 s2, s9, -1
	s_delay_alu instid0(VALU_DEP_3) | instskip(NEXT) | instid1(VALU_DEP_3)
	v_cmp_gt_u32_e32 vcc_lo, s8, v0
	v_cmp_gt_u32_e64 s2, s2, v1
	s_delay_alu instid0(VALU_DEP_3) | instskip(NEXT) | instid1(VALU_DEP_2)
	v_cmp_gt_u32_e64 s3, s3, v2
	s_and_b32 s2, vcc_lo, s2
	s_delay_alu instid0(VALU_DEP_1) | instid1(SALU_CYCLE_1)
	s_and_b32 s2, s2, s3
	s_delay_alu instid0(SALU_CYCLE_1)
	s_and_saveexec_b32 s3, s2
	s_cbranch_execz .LBB1_2
; %bb.1:
	v_mad_u64_u32 v[3:4], null, v2, s9, v[1:2]
	v_mov_b32_e32 v1, 0
	s_clause 0x1
	s_load_b128 s[4:7], s[0:1], 0xa0
	s_load_b64 s[2:3], s[0:1], 0xb0
	s_delay_alu instid0(VALU_DEP_2) | instskip(SKIP_2) | instid1(VALU_DEP_3)
	v_add_nc_u32_e32 v6, s9, v3
	v_mad_u64_u32 v[4:5], null, v3, s8, v[0:1]
	v_mov_b32_e32 v5, v1
	v_mad_u64_u32 v[2:3], null, v6, s8, v[0:1]
	s_delay_alu instid0(VALU_DEP_3) | instskip(NEXT) | instid1(VALU_DEP_3)
	v_dual_mov_b32 v3, v1 :: v_dual_add_nc_u32 v0, s8, v4
	v_lshlrev_b64 v[4:5], 2, v[4:5]
	s_delay_alu instid0(VALU_DEP_2) | instskip(NEXT) | instid1(VALU_DEP_3)
	v_lshlrev_b64 v[2:3], 2, v[2:3]
	v_lshlrev_b64 v[0:1], 2, v[0:1]
	s_waitcnt lgkmcnt(0)
	s_delay_alu instid0(VALU_DEP_3) | instskip(NEXT) | instid1(VALU_DEP_4)
	v_add_co_u32 v6, vcc_lo, s6, v4
	v_add_co_ci_u32_e32 v7, vcc_lo, s7, v5, vcc_lo
	s_delay_alu instid0(VALU_DEP_3) | instskip(NEXT) | instid1(VALU_DEP_4)
	v_add_co_u32 v0, vcc_lo, s6, v0
	v_add_co_ci_u32_e32 v1, vcc_lo, s7, v1, vcc_lo
	v_add_co_u32 v2, vcc_lo, s2, v2
	v_add_co_ci_u32_e32 v3, vcc_lo, s3, v3, vcc_lo
	;; [unrolled: 2-line block ×3, first 2 shown]
	s_clause 0x1
	global_load_b32 v10, v[0:1], off
	global_load_b32 v6, v[6:7], off
	s_clause 0x1
	global_load_b32 v7, v[2:3], off
	global_load_b32 v8, v[8:9], off
	s_clause 0x1
	s_load_b64 s[2:3], s[0:1], 0x40
	s_load_b64 s[6:7], s[0:1], 0x58
	s_waitcnt lgkmcnt(0)
	v_add_co_u32 v0, vcc_lo, s2, v4
	v_add_co_ci_u32_e32 v1, vcc_lo, s3, v5, vcc_lo
	v_add_co_u32 v2, vcc_lo, s6, v4
	v_add_co_ci_u32_e32 v3, vcc_lo, s7, v5, vcc_lo
	global_load_b32 v9, v[0:1], off
	global_load_b32 v2, v[2:3], off
	v_add_co_u32 v0, vcc_lo, s4, v4
	v_add_co_ci_u32_e32 v1, vcc_lo, s5, v5, vcc_lo
	s_clause 0x1
	s_load_b64 s[2:3], s[0:1], 0x10
	s_load_b32 s1, s[0:1], 0x34
	global_load_b32 v3, v[0:1], off
	s_waitcnt vmcnt(3)
	v_dual_sub_f32 v4, v10, v6 :: v_dual_sub_f32 v5, v7, v8
	s_waitcnt lgkmcnt(0)
	s_delay_alu instid0(VALU_DEP_1) | instskip(NEXT) | instid1(VALU_DEP_2)
	v_div_scale_f32 v6, null, s2, s2, v4
	v_div_scale_f32 v7, null, s3, s3, v5
	v_div_scale_f32 v13, vcc_lo, v4, s2, v4
	s_delay_alu instid0(VALU_DEP_3) | instskip(NEXT) | instid1(VALU_DEP_2)
	v_rcp_f32_e32 v8, v6
	v_rcp_f32_e32 v10, v7
	s_waitcnt_depctr 0xfff
	v_fma_f32 v11, -v6, v8, 1.0
	v_fma_f32 v12, -v7, v10, 1.0
	s_delay_alu instid0(VALU_DEP_2) | instskip(NEXT) | instid1(VALU_DEP_2)
	v_fmac_f32_e32 v8, v11, v8
	v_fmac_f32_e32 v10, v12, v10
	v_div_scale_f32 v11, s0, v5, s3, v5
	s_delay_alu instid0(VALU_DEP_3) | instskip(SKIP_2) | instid1(VALU_DEP_3)
	v_mul_f32_e32 v12, v13, v8
	s_waitcnt vmcnt(1)
	v_mul_f32_e32 v2, s1, v2
	v_mul_f32_e32 v14, v11, v10
	s_delay_alu instid0(VALU_DEP_3) | instskip(NEXT) | instid1(VALU_DEP_2)
	v_fma_f32 v15, -v6, v12, v13
	v_fma_f32 v16, -v7, v14, v11
	s_delay_alu instid0(VALU_DEP_2) | instskip(NEXT) | instid1(VALU_DEP_2)
	v_fmac_f32_e32 v12, v15, v8
	v_fmac_f32_e32 v14, v16, v10
	s_delay_alu instid0(VALU_DEP_2) | instskip(NEXT) | instid1(VALU_DEP_2)
	v_fma_f32 v6, -v6, v12, v13
	v_fma_f32 v7, -v7, v14, v11
	s_delay_alu instid0(VALU_DEP_2) | instskip(SKIP_2) | instid1(VALU_DEP_3)
	v_div_fmas_f32 v6, v6, v8, v12
	s_mov_b32 vcc_lo, s0
	v_mul_f32_e32 v8, 0x35a8a9b8, v9
	v_div_fmas_f32 v7, v7, v10, v14
	s_delay_alu instid0(VALU_DEP_3) | instskip(NEXT) | instid1(VALU_DEP_3)
	v_div_fixup_f32 v4, v6, s2, v4
	v_add_f32_e32 v6, v8, v8
	s_delay_alu instid0(VALU_DEP_3) | instskip(NEXT) | instid1(VALU_DEP_2)
	v_div_fixup_f32 v5, v7, s3, v5
	v_div_scale_f32 v13, vcc_lo, v2, v6, v2
	s_delay_alu instid0(VALU_DEP_2) | instskip(SKIP_1) | instid1(VALU_DEP_2)
	v_sub_f32_e32 v4, v4, v5
	v_div_scale_f32 v5, null, v6, v6, v2
	v_div_scale_f32 v7, null, v8, v8, v4
	s_delay_alu instid0(VALU_DEP_2) | instskip(NEXT) | instid1(VALU_DEP_1)
	v_rcp_f32_e32 v9, v5
	v_rcp_f32_e32 v10, v7
	s_waitcnt_depctr 0xfff
	v_fma_f32 v11, -v5, v9, 1.0
	v_fma_f32 v12, -v7, v10, 1.0
	s_delay_alu instid0(VALU_DEP_2) | instskip(SKIP_1) | instid1(VALU_DEP_3)
	v_fmac_f32_e32 v9, v11, v9
	v_div_scale_f32 v11, s0, v4, v8, v4
	v_fmac_f32_e32 v10, v12, v10
	s_delay_alu instid0(VALU_DEP_3) | instskip(NEXT) | instid1(VALU_DEP_2)
	v_mul_f32_e32 v12, v13, v9
	v_mul_f32_e32 v14, v11, v10
	s_delay_alu instid0(VALU_DEP_2) | instskip(NEXT) | instid1(VALU_DEP_2)
	v_fma_f32 v15, -v5, v12, v13
	v_fma_f32 v16, -v7, v14, v11
	s_delay_alu instid0(VALU_DEP_2) | instskip(NEXT) | instid1(VALU_DEP_2)
	v_fmac_f32_e32 v12, v15, v9
	v_fmac_f32_e32 v14, v16, v10
	s_delay_alu instid0(VALU_DEP_2) | instskip(NEXT) | instid1(VALU_DEP_2)
	v_fma_f32 v5, -v5, v12, v13
	v_fma_f32 v7, -v7, v14, v11
	s_delay_alu instid0(VALU_DEP_2) | instskip(SKIP_1) | instid1(VALU_DEP_2)
	v_div_fmas_f32 v5, v5, v9, v12
	s_mov_b32 vcc_lo, s0
	v_div_fmas_f32 v7, v7, v10, v14
	s_delay_alu instid0(VALU_DEP_2) | instskip(NEXT) | instid1(VALU_DEP_2)
	v_div_fixup_f32 v2, v5, v6, v2
	v_div_fixup_f32 v4, v7, v8, v4
	s_delay_alu instid0(VALU_DEP_2) | instskip(SKIP_1) | instid1(VALU_DEP_3)
	v_sub_f32_e32 v5, 1.0, v2
	v_add_f32_e32 v2, 1.0, v2
	v_mul_f32_e32 v4, s1, v4
	s_waitcnt vmcnt(0)
	s_delay_alu instid0(VALU_DEP_1) | instskip(NEXT) | instid1(VALU_DEP_1)
	v_fma_f32 v3, v3, v5, -v4
	v_div_scale_f32 v4, null, v2, v2, v3
	s_delay_alu instid0(VALU_DEP_1) | instskip(SKIP_2) | instid1(VALU_DEP_1)
	v_rcp_f32_e32 v5, v4
	s_waitcnt_depctr 0xfff
	v_fma_f32 v6, -v4, v5, 1.0
	v_fmac_f32_e32 v5, v6, v5
	v_div_scale_f32 v6, vcc_lo, v3, v2, v3
	s_delay_alu instid0(VALU_DEP_1) | instskip(NEXT) | instid1(VALU_DEP_1)
	v_mul_f32_e32 v7, v6, v5
	v_fma_f32 v8, -v4, v7, v6
	s_delay_alu instid0(VALU_DEP_1) | instskip(NEXT) | instid1(VALU_DEP_1)
	v_fmac_f32_e32 v7, v8, v5
	v_fma_f32 v4, -v4, v7, v6
	s_delay_alu instid0(VALU_DEP_1) | instskip(NEXT) | instid1(VALU_DEP_1)
	v_div_fmas_f32 v4, v4, v5, v7
	v_div_fixup_f32 v2, v4, v2, v3
	global_store_b32 v[0:1], v2, off
.LBB1_2:
	s_nop 0
	s_sendmsg sendmsg(MSG_DEALLOC_VGPRS)
	s_endpgm
	.section	.rodata,"a",@progbits
	.p2align	6, 0x0
	.amdhsa_kernel _Z15updateHx_kernel10FDTD_Setup13Medium_ParamsPfPKfS3_
		.amdhsa_group_segment_fixed_size 0
		.amdhsa_private_segment_fixed_size 0
		.amdhsa_kernarg_size 440
		.amdhsa_user_sgpr_count 13
		.amdhsa_user_sgpr_dispatch_ptr 0
		.amdhsa_user_sgpr_queue_ptr 0
		.amdhsa_user_sgpr_kernarg_segment_ptr 1
		.amdhsa_user_sgpr_dispatch_id 0
		.amdhsa_user_sgpr_private_segment_size 0
		.amdhsa_wavefront_size32 1
		.amdhsa_uses_dynamic_stack 0
		.amdhsa_enable_private_segment 0
		.amdhsa_system_sgpr_workgroup_id_x 1
		.amdhsa_system_sgpr_workgroup_id_y 1
		.amdhsa_system_sgpr_workgroup_id_z 1
		.amdhsa_system_sgpr_workgroup_info 0
		.amdhsa_system_vgpr_workitem_id 2
		.amdhsa_next_free_vgpr 17
		.amdhsa_next_free_sgpr 16
		.amdhsa_reserve_vcc 1
		.amdhsa_float_round_mode_32 0
		.amdhsa_float_round_mode_16_64 0
		.amdhsa_float_denorm_mode_32 3
		.amdhsa_float_denorm_mode_16_64 3
		.amdhsa_dx10_clamp 1
		.amdhsa_ieee_mode 1
		.amdhsa_fp16_overflow 0
		.amdhsa_workgroup_processor_mode 1
		.amdhsa_memory_ordered 1
		.amdhsa_forward_progress 0
		.amdhsa_shared_vgpr_count 0
		.amdhsa_exception_fp_ieee_invalid_op 0
		.amdhsa_exception_fp_denorm_src 0
		.amdhsa_exception_fp_ieee_div_zero 0
		.amdhsa_exception_fp_ieee_overflow 0
		.amdhsa_exception_fp_ieee_underflow 0
		.amdhsa_exception_fp_ieee_inexact 0
		.amdhsa_exception_int_div_zero 0
	.end_amdhsa_kernel
	.text
.Lfunc_end1:
	.size	_Z15updateHx_kernel10FDTD_Setup13Medium_ParamsPfPKfS3_, .Lfunc_end1-_Z15updateHx_kernel10FDTD_Setup13Medium_ParamsPfPKfS3_
                                        ; -- End function
	.section	.AMDGPU.csdata,"",@progbits
; Kernel info:
; codeLenInByte = 1024
; NumSgprs: 18
; NumVgprs: 17
; ScratchSize: 0
; MemoryBound: 0
; FloatMode: 240
; IeeeMode: 1
; LDSByteSize: 0 bytes/workgroup (compile time only)
; SGPRBlocks: 2
; VGPRBlocks: 2
; NumSGPRsForWavesPerEU: 18
; NumVGPRsForWavesPerEU: 17
; Occupancy: 16
; WaveLimiterHint : 0
; COMPUTE_PGM_RSRC2:SCRATCH_EN: 0
; COMPUTE_PGM_RSRC2:USER_SGPR: 13
; COMPUTE_PGM_RSRC2:TRAP_HANDLER: 0
; COMPUTE_PGM_RSRC2:TGID_X_EN: 1
; COMPUTE_PGM_RSRC2:TGID_Y_EN: 1
; COMPUTE_PGM_RSRC2:TGID_Z_EN: 1
; COMPUTE_PGM_RSRC2:TIDIG_COMP_CNT: 2
	.text
	.protected	_Z14updateH_kernel10FDTD_SetupPfPKfS2_S0_S0_ffjjjjj ; -- Begin function _Z14updateH_kernel10FDTD_SetupPfPKfS2_S0_S0_ffjjjjj
	.globl	_Z14updateH_kernel10FDTD_SetupPfPKfS2_S0_S0_ffjjjjj
	.p2align	8
	.type	_Z14updateH_kernel10FDTD_SetupPfPKfS2_S0_S0_ffjjjjj,@function
_Z14updateH_kernel10FDTD_SetupPfPKfS2_S0_S0_ffjjjjj: ; @_Z14updateH_kernel10FDTD_SetupPfPKfS2_S0_S0_ffjjjjj
; %bb.0:
	s_clause 0x1
	s_load_b64 s[2:3], s[0:1], 0x94
	s_load_b128 s[4:7], s[0:1], 0x78
	v_and_b32_e32 v2, 0x3ff, v0
	v_bfe_u32 v3, v0, 10, 10
	v_bfe_u32 v4, v0, 20, 10
	s_waitcnt lgkmcnt(0)
	s_lshr_b32 s7, s2, 16
	s_and_b32 s2, s2, 0xffff
	s_and_b32 s3, s3, 0xffff
	v_mad_u64_u32 v[0:1], null, s13, s2, v[2:3]
	v_mad_u64_u32 v[1:2], null, s14, s7, v[3:4]
	;; [unrolled: 1-line block ×3, first 2 shown]
	s_delay_alu instid0(VALU_DEP_3) | instskip(NEXT) | instid1(VALU_DEP_3)
	v_cmp_gt_u32_e32 vcc_lo, s4, v0
	v_cmp_gt_u32_e64 s2, s5, v1
	s_delay_alu instid0(VALU_DEP_3) | instskip(NEXT) | instid1(VALU_DEP_2)
	v_cmp_gt_u32_e64 s3, s6, v2
	s_and_b32 s2, vcc_lo, s2
	s_delay_alu instid0(VALU_DEP_1) | instid1(SALU_CYCLE_1)
	s_and_b32 s2, s2, s3
	s_delay_alu instid0(SALU_CYCLE_1)
	s_and_saveexec_b32 s3, s2
	s_cbranch_execz .LBB2_2
; %bb.1:
	s_clause 0x4
	s_load_b64 s[2:3], s[0:1], 0x0
	s_load_b128 s[12:15], s[0:1], 0x68
	s_load_b32 s16, s[0:1], 0x34
	s_load_b256 s[4:11], s[0:1], 0x40
	s_load_b64 s[0:1], s[0:1], 0x60
	s_waitcnt lgkmcnt(0)
	v_mad_u64_u32 v[3:4], null, s3, v2, v[1:2]
	v_mov_b32_e32 v1, 0
	s_delay_alu instid0(VALU_DEP_1) | instskip(NEXT) | instid1(VALU_DEP_1)
	v_mad_u64_u32 v[4:5], null, v3, s2, v[0:1]
	v_dual_mov_b32 v5, v1 :: v_dual_add_nc_u32 v0, s14, v4
	s_delay_alu instid0(VALU_DEP_1) | instskip(NEXT) | instid1(VALU_DEP_2)
	v_lshlrev_b64 v[2:3], 2, v[4:5]
	v_lshlrev_b64 v[5:6], 2, v[0:1]
	v_add_nc_u32_e32 v0, s15, v4
	s_delay_alu instid0(VALU_DEP_3) | instskip(NEXT) | instid1(VALU_DEP_2)
	v_add_co_u32 v7, vcc_lo, s6, v2
	v_lshlrev_b64 v[0:1], 2, v[0:1]
	v_add_co_ci_u32_e32 v8, vcc_lo, s7, v3, vcc_lo
	v_add_co_u32 v4, vcc_lo, s6, v5
	v_add_co_ci_u32_e32 v5, vcc_lo, s7, v6, vcc_lo
	s_delay_alu instid0(VALU_DEP_4)
	v_add_co_u32 v0, vcc_lo, s8, v0
	v_add_co_ci_u32_e32 v1, vcc_lo, s9, v1, vcc_lo
	v_add_co_u32 v9, vcc_lo, s8, v2
	v_add_co_ci_u32_e32 v10, vcc_lo, s9, v3, vcc_lo
	s_clause 0x1
	global_load_b32 v6, v[4:5], off
	global_load_b32 v7, v[7:8], off
	s_clause 0x1
	global_load_b32 v8, v[0:1], off
	global_load_b32 v9, v[9:10], off
	v_add_co_u32 v0, vcc_lo, s10, v2
	v_add_co_ci_u32_e32 v1, vcc_lo, s11, v3, vcc_lo
	v_add_co_u32 v4, vcc_lo, s0, v2
	v_add_co_ci_u32_e32 v5, vcc_lo, s1, v3, vcc_lo
	global_load_b32 v10, v[0:1], off
	global_load_b32 v4, v[4:5], off
	v_add_co_u32 v0, vcc_lo, s4, v2
	v_add_co_ci_u32_e32 v1, vcc_lo, s5, v3, vcc_lo
	global_load_b32 v2, v[0:1], off
	s_waitcnt vmcnt(5)
	v_sub_f32_e32 v3, v6, v7
	s_waitcnt vmcnt(3)
	v_sub_f32_e32 v5, v8, v9
	s_delay_alu instid0(VALU_DEP_2) | instskip(NEXT) | instid1(VALU_DEP_2)
	v_div_scale_f32 v6, null, s13, s13, v3
	v_div_scale_f32 v7, null, s12, s12, v5
	s_delay_alu instid0(VALU_DEP_2) | instskip(NEXT) | instid1(VALU_DEP_1)
	v_rcp_f32_e32 v8, v6
	v_rcp_f32_e32 v9, v7
	s_waitcnt vmcnt(1)
	v_mul_f32_e32 v4, s16, v4
	s_waitcnt_depctr 0xfff
	v_fma_f32 v11, -v6, v8, 1.0
	v_fma_f32 v12, -v7, v9, 1.0
	s_delay_alu instid0(VALU_DEP_2) | instskip(SKIP_1) | instid1(VALU_DEP_1)
	v_fmac_f32_e32 v8, v11, v8
	v_div_scale_f32 v13, vcc_lo, v3, s13, v3
	v_dual_fmac_f32 v9, v12, v9 :: v_dual_mul_f32 v12, v13, v8
	v_div_scale_f32 v11, s0, v5, s12, v5
	s_delay_alu instid0(VALU_DEP_2) | instskip(NEXT) | instid1(VALU_DEP_1)
	v_fma_f32 v15, -v6, v12, v13
	v_fmac_f32_e32 v12, v15, v8
	s_delay_alu instid0(VALU_DEP_3) | instskip(NEXT) | instid1(VALU_DEP_2)
	v_mul_f32_e32 v14, v11, v9
	v_fma_f32 v6, -v6, v12, v13
	s_delay_alu instid0(VALU_DEP_2) | instskip(NEXT) | instid1(VALU_DEP_2)
	v_fma_f32 v16, -v7, v14, v11
	v_div_fmas_f32 v6, v6, v8, v12
	s_delay_alu instid0(VALU_DEP_2) | instskip(SKIP_1) | instid1(VALU_DEP_2)
	v_fmac_f32_e32 v14, v16, v9
	s_mov_b32 vcc_lo, s0
	v_div_fixup_f32 v3, v6, s13, v3
	s_delay_alu instid0(VALU_DEP_2) | instskip(NEXT) | instid1(VALU_DEP_1)
	v_fma_f32 v7, -v7, v14, v11
	v_div_fmas_f32 v7, v7, v9, v14
	s_delay_alu instid0(VALU_DEP_1) | instskip(NEXT) | instid1(VALU_DEP_1)
	v_div_fixup_f32 v5, v7, s12, v5
	v_dual_mul_f32 v8, 0x35a8a9b8, v10 :: v_dual_sub_f32 v3, v3, v5
	s_delay_alu instid0(VALU_DEP_1) | instskip(NEXT) | instid1(VALU_DEP_2)
	v_add_f32_e32 v6, v8, v8
	v_div_scale_f32 v7, null, v8, v8, v3
	s_delay_alu instid0(VALU_DEP_2) | instskip(NEXT) | instid1(VALU_DEP_2)
	v_div_scale_f32 v5, null, v6, v6, v4
	v_rcp_f32_e32 v10, v7
	s_delay_alu instid0(VALU_DEP_1) | instskip(SKIP_3) | instid1(VALU_DEP_1)
	v_rcp_f32_e32 v9, v5
	s_waitcnt_depctr 0xfff
	v_fma_f32 v12, -v7, v10, 1.0
	v_fma_f32 v11, -v5, v9, 1.0
	v_dual_fmac_f32 v10, v12, v10 :: v_dual_fmac_f32 v9, v11, v9
	v_div_scale_f32 v13, vcc_lo, v4, v6, v4
	v_div_scale_f32 v11, s0, v3, v8, v3
	s_delay_alu instid0(VALU_DEP_2) | instskip(NEXT) | instid1(VALU_DEP_2)
	v_mul_f32_e32 v12, v13, v9
	v_mul_f32_e32 v14, v11, v10
	s_delay_alu instid0(VALU_DEP_2) | instskip(NEXT) | instid1(VALU_DEP_2)
	v_fma_f32 v15, -v5, v12, v13
	v_fma_f32 v16, -v7, v14, v11
	s_delay_alu instid0(VALU_DEP_2) | instskip(NEXT) | instid1(VALU_DEP_2)
	v_fmac_f32_e32 v12, v15, v9
	v_fmac_f32_e32 v14, v16, v10
	s_delay_alu instid0(VALU_DEP_2) | instskip(NEXT) | instid1(VALU_DEP_2)
	v_fma_f32 v5, -v5, v12, v13
	v_fma_f32 v7, -v7, v14, v11
	s_delay_alu instid0(VALU_DEP_2) | instskip(SKIP_1) | instid1(VALU_DEP_2)
	v_div_fmas_f32 v5, v5, v9, v12
	s_mov_b32 vcc_lo, s0
	v_div_fmas_f32 v7, v7, v10, v14
	s_delay_alu instid0(VALU_DEP_2) | instskip(NEXT) | instid1(VALU_DEP_2)
	v_div_fixup_f32 v4, v5, v6, v4
	v_div_fixup_f32 v3, v7, v8, v3
	s_delay_alu instid0(VALU_DEP_2) | instskip(NEXT) | instid1(VALU_DEP_2)
	v_sub_f32_e32 v5, 1.0, v4
	v_dual_add_f32 v4, 1.0, v4 :: v_dual_mul_f32 v3, s16, v3
	s_waitcnt vmcnt(0)
	s_delay_alu instid0(VALU_DEP_1) | instskip(NEXT) | instid1(VALU_DEP_1)
	v_fma_f32 v2, v2, v5, -v3
	v_div_scale_f32 v3, null, v4, v4, v2
	s_delay_alu instid0(VALU_DEP_1) | instskip(SKIP_2) | instid1(VALU_DEP_1)
	v_rcp_f32_e32 v5, v3
	s_waitcnt_depctr 0xfff
	v_fma_f32 v6, -v3, v5, 1.0
	v_fmac_f32_e32 v5, v6, v5
	v_div_scale_f32 v6, vcc_lo, v2, v4, v2
	s_delay_alu instid0(VALU_DEP_1) | instskip(NEXT) | instid1(VALU_DEP_1)
	v_mul_f32_e32 v7, v6, v5
	v_fma_f32 v8, -v3, v7, v6
	s_delay_alu instid0(VALU_DEP_1) | instskip(NEXT) | instid1(VALU_DEP_1)
	v_fmac_f32_e32 v7, v8, v5
	v_fma_f32 v3, -v3, v7, v6
	s_delay_alu instid0(VALU_DEP_1) | instskip(NEXT) | instid1(VALU_DEP_1)
	v_div_fmas_f32 v3, v3, v5, v7
	v_div_fixup_f32 v2, v3, v4, v2
	global_store_b32 v[0:1], v2, off
.LBB2_2:
	s_nop 0
	s_sendmsg sendmsg(MSG_DEALLOC_VGPRS)
	s_endpgm
	.section	.rodata,"a",@progbits
	.p2align	6, 0x0
	.amdhsa_kernel _Z14updateH_kernel10FDTD_SetupPfPKfS2_S0_S0_ffjjjjj
		.amdhsa_group_segment_fixed_size 0
		.amdhsa_private_segment_fixed_size 0
		.amdhsa_kernarg_size 392
		.amdhsa_user_sgpr_count 13
		.amdhsa_user_sgpr_dispatch_ptr 0
		.amdhsa_user_sgpr_queue_ptr 0
		.amdhsa_user_sgpr_kernarg_segment_ptr 1
		.amdhsa_user_sgpr_dispatch_id 0
		.amdhsa_user_sgpr_private_segment_size 0
		.amdhsa_wavefront_size32 1
		.amdhsa_uses_dynamic_stack 0
		.amdhsa_enable_private_segment 0
		.amdhsa_system_sgpr_workgroup_id_x 1
		.amdhsa_system_sgpr_workgroup_id_y 1
		.amdhsa_system_sgpr_workgroup_id_z 1
		.amdhsa_system_sgpr_workgroup_info 0
		.amdhsa_system_vgpr_workitem_id 2
		.amdhsa_next_free_vgpr 17
		.amdhsa_next_free_sgpr 17
		.amdhsa_reserve_vcc 1
		.amdhsa_float_round_mode_32 0
		.amdhsa_float_round_mode_16_64 0
		.amdhsa_float_denorm_mode_32 3
		.amdhsa_float_denorm_mode_16_64 3
		.amdhsa_dx10_clamp 1
		.amdhsa_ieee_mode 1
		.amdhsa_fp16_overflow 0
		.amdhsa_workgroup_processor_mode 1
		.amdhsa_memory_ordered 1
		.amdhsa_forward_progress 0
		.amdhsa_shared_vgpr_count 0
		.amdhsa_exception_fp_ieee_invalid_op 0
		.amdhsa_exception_fp_denorm_src 0
		.amdhsa_exception_fp_ieee_div_zero 0
		.amdhsa_exception_fp_ieee_overflow 0
		.amdhsa_exception_fp_ieee_underflow 0
		.amdhsa_exception_fp_ieee_inexact 0
		.amdhsa_exception_int_div_zero 0
	.end_amdhsa_kernel
	.text
.Lfunc_end2:
	.size	_Z14updateH_kernel10FDTD_SetupPfPKfS2_S0_S0_ffjjjjj, .Lfunc_end2-_Z14updateH_kernel10FDTD_SetupPfPKfS2_S0_S0_ffjjjjj
                                        ; -- End function
	.section	.AMDGPU.csdata,"",@progbits
; Kernel info:
; codeLenInByte = 972
; NumSgprs: 19
; NumVgprs: 17
; ScratchSize: 0
; MemoryBound: 0
; FloatMode: 240
; IeeeMode: 1
; LDSByteSize: 0 bytes/workgroup (compile time only)
; SGPRBlocks: 2
; VGPRBlocks: 2
; NumSGPRsForWavesPerEU: 19
; NumVGPRsForWavesPerEU: 17
; Occupancy: 16
; WaveLimiterHint : 0
; COMPUTE_PGM_RSRC2:SCRATCH_EN: 0
; COMPUTE_PGM_RSRC2:USER_SGPR: 13
; COMPUTE_PGM_RSRC2:TRAP_HANDLER: 0
; COMPUTE_PGM_RSRC2:TGID_X_EN: 1
; COMPUTE_PGM_RSRC2:TGID_Y_EN: 1
; COMPUTE_PGM_RSRC2:TGID_Z_EN: 1
; COMPUTE_PGM_RSRC2:TIDIG_COMP_CNT: 2
	.text
	.protected	_Z15updateEx_kernel10FDTD_Setup13Medium_ParamsPfPKfS3_ ; -- Begin function _Z15updateEx_kernel10FDTD_Setup13Medium_ParamsPfPKfS3_
	.globl	_Z15updateEx_kernel10FDTD_Setup13Medium_ParamsPfPKfS3_
	.p2align	8
	.type	_Z15updateEx_kernel10FDTD_Setup13Medium_ParamsPfPKfS3_,@function
_Z15updateEx_kernel10FDTD_Setup13Medium_ParamsPfPKfS3_: ; @_Z15updateEx_kernel10FDTD_Setup13Medium_ParamsPfPKfS3_
; %bb.0:
	s_clause 0x1
	s_load_b64 s[2:3], s[0:1], 0xc4
	s_load_b128 s[8:11], s[0:1], 0x0
	v_and_b32_e32 v2, 0x3ff, v0
	v_bfe_u32 v3, v0, 10, 10
	v_bfe_u32 v4, v0, 20, 10
	s_waitcnt lgkmcnt(0)
	s_lshr_b32 s4, s2, 16
	s_and_b32 s2, s2, 0xffff
	s_and_b32 s3, s3, 0xffff
	v_mad_u64_u32 v[0:1], null, s13, s2, v[2:3]
	v_mad_u64_u32 v[1:2], null, s14, s4, v[3:4]
	;; [unrolled: 1-line block ×3, first 2 shown]
	s_add_i32 s2, s8, -1
	s_delay_alu instid0(VALU_DEP_3) | instid1(SALU_CYCLE_1)
	v_cmp_gt_u32_e32 vcc_lo, s2, v0
	s_delay_alu instid0(VALU_DEP_3) | instskip(NEXT) | instid1(VALU_DEP_3)
	v_cmp_gt_u32_e64 s2, s9, v1
	v_cmp_gt_u32_e64 s3, s10, v2
	s_delay_alu instid0(VALU_DEP_2)
	s_and_b32 s2, vcc_lo, s2
	s_delay_alu instid0(VALU_DEP_1) | instid1(SALU_CYCLE_1)
	s_and_b32 s2, s2, s3
	s_delay_alu instid0(SALU_CYCLE_1)
	s_and_saveexec_b32 s3, s2
	s_cbranch_execz .LBB3_2
; %bb.1:
	v_mul_lo_u32 v3, v2, s9
	v_max_i32_e32 v4, 1, v2
	v_max_i32_e32 v5, 1, v1
	s_add_i32 s10, s10, -2
	s_clause 0x1
	s_load_b64 s[2:3], s[0:1], 0xb0
	s_load_b128 s[4:7], s[0:1], 0xa0
	v_min_u32_e32 v9, s10, v2
	v_add_nc_u32_e32 v4, -1, v4
	v_add3_u32 v5, v5, v3, -1
	v_add_nc_u32_e32 v7, v3, v1
	s_delay_alu instid0(VALU_DEP_3) | instskip(NEXT) | instid1(VALU_DEP_3)
	v_mad_u64_u32 v[2:3], null, v4, s9, v[1:2]
	v_mad_u64_u32 v[3:4], null, v5, s8, v[0:1]
	v_mov_b32_e32 v4, 0
	s_delay_alu instid0(VALU_DEP_4) | instskip(NEXT) | instid1(VALU_DEP_4)
	v_mad_u64_u32 v[5:6], null, v7, s8, v[0:1]
	v_mad_u64_u32 v[7:8], null, v9, s9, v[1:2]
	;; [unrolled: 1-line block ×3, first 2 shown]
	s_delay_alu instid0(VALU_DEP_4) | instskip(SKIP_2) | instid1(VALU_DEP_2)
	v_lshlrev_b64 v[1:2], 2, v[3:4]
	v_mov_b32_e32 v6, v4
	v_mov_b32_e32 v9, v4
	v_lshlrev_b64 v[5:6], 2, v[5:6]
	s_delay_alu instid0(VALU_DEP_4)
	v_mad_u64_u32 v[10:11], null, v7, s8, v[0:1]
	s_waitcnt lgkmcnt(0)
	v_add_co_u32 v0, vcc_lo, s6, v1
	v_mov_b32_e32 v11, v4
	v_add_co_ci_u32_e32 v1, vcc_lo, s7, v2, vcc_lo
	v_lshlrev_b64 v[2:3], 2, v[8:9]
	v_add_co_u32 v7, vcc_lo, s6, v5
	s_delay_alu instid0(VALU_DEP_4) | instskip(SKIP_1) | instid1(VALU_DEP_4)
	v_lshlrev_b64 v[9:10], 2, v[10:11]
	v_add_co_ci_u32_e32 v8, vcc_lo, s7, v6, vcc_lo
	v_add_co_u32 v2, vcc_lo, s2, v2
	v_add_co_ci_u32_e32 v3, vcc_lo, s3, v3, vcc_lo
	s_delay_alu instid0(VALU_DEP_4)
	v_add_co_u32 v9, vcc_lo, s2, v9
	v_add_co_ci_u32_e32 v10, vcc_lo, s3, v10, vcc_lo
	s_clause 0x1
	global_load_b32 v4, v[0:1], off
	global_load_b32 v7, v[7:8], off
	s_clause 0x1
	global_load_b32 v8, v[2:3], off
	global_load_b32 v9, v[9:10], off
	s_clause 0x2
	s_load_b64 s[2:3], s[0:1], 0x70
	s_load_b64 s[6:7], s[0:1], 0x88
	s_load_b32 s8, s[0:1], 0x34
	s_waitcnt lgkmcnt(0)
	v_add_co_u32 v0, vcc_lo, s2, v5
	v_add_co_ci_u32_e32 v1, vcc_lo, s3, v6, vcc_lo
	v_add_co_u32 v2, vcc_lo, s6, v5
	v_add_co_ci_u32_e32 v3, vcc_lo, s7, v6, vcc_lo
	global_load_b32 v10, v[0:1], off
	global_load_b32 v2, v[2:3], off
	v_add_co_u32 v0, vcc_lo, s4, v5
	v_add_co_ci_u32_e32 v1, vcc_lo, s5, v6, vcc_lo
	s_load_b64 s[2:3], s[0:1], 0x10
	global_load_b32 v3, v[0:1], off
	s_waitcnt vmcnt(5)
	v_sub_f32_e32 v4, v7, v4
	s_waitcnt vmcnt(3)
	v_sub_f32_e32 v5, v9, v8
	s_waitcnt lgkmcnt(0)
	s_delay_alu instid0(VALU_DEP_2) | instskip(NEXT) | instid1(VALU_DEP_2)
	v_div_scale_f32 v6, null, s2, s2, v4
	v_div_scale_f32 v7, null, s3, s3, v5
	v_div_scale_f32 v13, vcc_lo, v4, s2, v4
	s_delay_alu instid0(VALU_DEP_3) | instskip(NEXT) | instid1(VALU_DEP_2)
	v_rcp_f32_e32 v8, v6
	v_rcp_f32_e32 v9, v7
	s_waitcnt_depctr 0xfff
	v_fma_f32 v11, -v6, v8, 1.0
	v_fma_f32 v12, -v7, v9, 1.0
	s_waitcnt vmcnt(2)
	s_delay_alu instid0(VALU_DEP_1) | instskip(NEXT) | instid1(VALU_DEP_3)
	v_dual_fmac_f32 v9, v12, v9 :: v_dual_mul_f32 v10, 0x2d1bc3b8, v10
	v_fmac_f32_e32 v8, v11, v8
	v_div_scale_f32 v11, s0, v5, s3, v5
	s_waitcnt vmcnt(1)
	v_mul_f32_e32 v2, s8, v2
	s_delay_alu instid0(VALU_DEP_3) | instskip(NEXT) | instid1(VALU_DEP_3)
	v_mul_f32_e32 v12, v13, v8
	v_mul_f32_e32 v14, v11, v9
	s_delay_alu instid0(VALU_DEP_2) | instskip(NEXT) | instid1(VALU_DEP_2)
	v_fma_f32 v15, -v6, v12, v13
	v_fma_f32 v16, -v7, v14, v11
	s_delay_alu instid0(VALU_DEP_2) | instskip(NEXT) | instid1(VALU_DEP_2)
	v_fmac_f32_e32 v12, v15, v8
	v_fmac_f32_e32 v14, v16, v9
	s_delay_alu instid0(VALU_DEP_2) | instskip(SKIP_1) | instid1(VALU_DEP_3)
	v_fma_f32 v6, -v6, v12, v13
	v_add_f32_e32 v13, v10, v10
	v_fma_f32 v7, -v7, v14, v11
	s_delay_alu instid0(VALU_DEP_3) | instskip(NEXT) | instid1(VALU_DEP_3)
	v_div_fmas_f32 v6, v6, v8, v12
	v_div_scale_f32 v8, null, v13, v13, v2
	s_mov_b32 vcc_lo, s0
	s_delay_alu instid0(VALU_DEP_2) | instskip(NEXT) | instid1(VALU_DEP_2)
	v_div_fixup_f32 v4, v6, s2, v4
	v_rcp_f32_e32 v6, v8
	v_div_fmas_f32 v7, v7, v9, v14
	v_div_scale_f32 v11, vcc_lo, v2, v13, v2
	s_delay_alu instid0(VALU_DEP_2) | instskip(SKIP_2) | instid1(VALU_DEP_1)
	v_div_fixup_f32 v5, v7, s3, v5
	s_waitcnt_depctr 0xfff
	v_fma_f32 v7, -v8, v6, 1.0
	v_fmac_f32_e32 v6, v7, v6
	s_delay_alu instid0(VALU_DEP_1) | instskip(NEXT) | instid1(VALU_DEP_1)
	v_mul_f32_e32 v7, v11, v6
	v_fma_f32 v14, -v8, v7, v11
	s_delay_alu instid0(VALU_DEP_1) | instskip(NEXT) | instid1(VALU_DEP_1)
	v_fmac_f32_e32 v7, v14, v6
	v_fma_f32 v8, -v8, v7, v11
	s_delay_alu instid0(VALU_DEP_1) | instskip(NEXT) | instid1(VALU_DEP_1)
	v_div_fmas_f32 v6, v8, v6, v7
	v_div_fixup_f32 v2, v6, v13, v2
	s_delay_alu instid0(VALU_DEP_1) | instskip(SKIP_3) | instid1(VALU_DEP_3)
	v_sub_f32_e32 v6, 1.0, v2
	v_sub_f32_e32 v4, v4, v5
	v_add_f32_e32 v2, 1.0, v2
	s_waitcnt vmcnt(0)
	v_mul_f32_e32 v3, v3, v6
	s_delay_alu instid0(VALU_DEP_3) | instskip(NEXT) | instid1(VALU_DEP_1)
	v_div_scale_f32 v5, null, v10, v10, v4
	v_rcp_f32_e32 v9, v5
	s_waitcnt_depctr 0xfff
	v_fma_f32 v12, -v5, v9, 1.0
	s_delay_alu instid0(VALU_DEP_1) | instskip(SKIP_1) | instid1(VALU_DEP_1)
	v_fmac_f32_e32 v9, v12, v9
	v_div_scale_f32 v15, s0, v4, v10, v4
	s_mov_b32 vcc_lo, s0
	s_delay_alu instid0(VALU_DEP_1) | instskip(NEXT) | instid1(VALU_DEP_1)
	v_mul_f32_e32 v12, v15, v9
	v_fma_f32 v11, -v5, v12, v15
	s_delay_alu instid0(VALU_DEP_1) | instskip(NEXT) | instid1(VALU_DEP_1)
	v_fmac_f32_e32 v12, v11, v9
	v_fma_f32 v5, -v5, v12, v15
	s_delay_alu instid0(VALU_DEP_1) | instskip(NEXT) | instid1(VALU_DEP_1)
	v_div_fmas_f32 v5, v5, v9, v12
	v_div_fixup_f32 v4, v5, v10, v4
	s_delay_alu instid0(VALU_DEP_1) | instskip(NEXT) | instid1(VALU_DEP_1)
	v_fmac_f32_e32 v3, s8, v4
	v_div_scale_f32 v4, null, v2, v2, v3
	s_delay_alu instid0(VALU_DEP_1) | instskip(SKIP_2) | instid1(VALU_DEP_1)
	v_rcp_f32_e32 v5, v4
	s_waitcnt_depctr 0xfff
	v_fma_f32 v6, -v4, v5, 1.0
	v_fmac_f32_e32 v5, v6, v5
	v_div_scale_f32 v6, vcc_lo, v3, v2, v3
	s_delay_alu instid0(VALU_DEP_1) | instskip(NEXT) | instid1(VALU_DEP_1)
	v_mul_f32_e32 v7, v6, v5
	v_fma_f32 v8, -v4, v7, v6
	s_delay_alu instid0(VALU_DEP_1) | instskip(NEXT) | instid1(VALU_DEP_1)
	v_fmac_f32_e32 v7, v8, v5
	v_fma_f32 v4, -v4, v7, v6
	s_delay_alu instid0(VALU_DEP_1) | instskip(NEXT) | instid1(VALU_DEP_1)
	v_div_fmas_f32 v4, v4, v5, v7
	v_div_fixup_f32 v2, v4, v2, v3
	global_store_b32 v[0:1], v2, off
.LBB3_2:
	s_nop 0
	s_sendmsg sendmsg(MSG_DEALLOC_VGPRS)
	s_endpgm
	.section	.rodata,"a",@progbits
	.p2align	6, 0x0
	.amdhsa_kernel _Z15updateEx_kernel10FDTD_Setup13Medium_ParamsPfPKfS3_
		.amdhsa_group_segment_fixed_size 0
		.amdhsa_private_segment_fixed_size 0
		.amdhsa_kernarg_size 440
		.amdhsa_user_sgpr_count 13
		.amdhsa_user_sgpr_dispatch_ptr 0
		.amdhsa_user_sgpr_queue_ptr 0
		.amdhsa_user_sgpr_kernarg_segment_ptr 1
		.amdhsa_user_sgpr_dispatch_id 0
		.amdhsa_user_sgpr_private_segment_size 0
		.amdhsa_wavefront_size32 1
		.amdhsa_uses_dynamic_stack 0
		.amdhsa_enable_private_segment 0
		.amdhsa_system_sgpr_workgroup_id_x 1
		.amdhsa_system_sgpr_workgroup_id_y 1
		.amdhsa_system_sgpr_workgroup_id_z 1
		.amdhsa_system_sgpr_workgroup_info 0
		.amdhsa_system_vgpr_workitem_id 2
		.amdhsa_next_free_vgpr 17
		.amdhsa_next_free_sgpr 16
		.amdhsa_reserve_vcc 1
		.amdhsa_float_round_mode_32 0
		.amdhsa_float_round_mode_16_64 0
		.amdhsa_float_denorm_mode_32 3
		.amdhsa_float_denorm_mode_16_64 3
		.amdhsa_dx10_clamp 1
		.amdhsa_ieee_mode 1
		.amdhsa_fp16_overflow 0
		.amdhsa_workgroup_processor_mode 1
		.amdhsa_memory_ordered 1
		.amdhsa_forward_progress 0
		.amdhsa_shared_vgpr_count 0
		.amdhsa_exception_fp_ieee_invalid_op 0
		.amdhsa_exception_fp_denorm_src 0
		.amdhsa_exception_fp_ieee_div_zero 0
		.amdhsa_exception_fp_ieee_overflow 0
		.amdhsa_exception_fp_ieee_underflow 0
		.amdhsa_exception_fp_ieee_inexact 0
		.amdhsa_exception_int_div_zero 0
	.end_amdhsa_kernel
	.text
.Lfunc_end3:
	.size	_Z15updateEx_kernel10FDTD_Setup13Medium_ParamsPfPKfS3_, .Lfunc_end3-_Z15updateEx_kernel10FDTD_Setup13Medium_ParamsPfPKfS3_
                                        ; -- End function
	.section	.AMDGPU.csdata,"",@progbits
; Kernel info:
; codeLenInByte = 1092
; NumSgprs: 18
; NumVgprs: 17
; ScratchSize: 0
; MemoryBound: 0
; FloatMode: 240
; IeeeMode: 1
; LDSByteSize: 0 bytes/workgroup (compile time only)
; SGPRBlocks: 2
; VGPRBlocks: 2
; NumSGPRsForWavesPerEU: 18
; NumVGPRsForWavesPerEU: 17
; Occupancy: 16
; WaveLimiterHint : 0
; COMPUTE_PGM_RSRC2:SCRATCH_EN: 0
; COMPUTE_PGM_RSRC2:USER_SGPR: 13
; COMPUTE_PGM_RSRC2:TRAP_HANDLER: 0
; COMPUTE_PGM_RSRC2:TGID_X_EN: 1
; COMPUTE_PGM_RSRC2:TGID_Y_EN: 1
; COMPUTE_PGM_RSRC2:TGID_Z_EN: 1
; COMPUTE_PGM_RSRC2:TIDIG_COMP_CNT: 2
	.text
	.protected	_Z15updateEy_kernel10FDTD_Setup13Medium_ParamsPfPKfS3_ ; -- Begin function _Z15updateEy_kernel10FDTD_Setup13Medium_ParamsPfPKfS3_
	.globl	_Z15updateEy_kernel10FDTD_Setup13Medium_ParamsPfPKfS3_
	.p2align	8
	.type	_Z15updateEy_kernel10FDTD_Setup13Medium_ParamsPfPKfS3_,@function
_Z15updateEy_kernel10FDTD_Setup13Medium_ParamsPfPKfS3_: ; @_Z15updateEy_kernel10FDTD_Setup13Medium_ParamsPfPKfS3_
; %bb.0:
	s_clause 0x1
	s_load_b64 s[2:3], s[0:1], 0xc4
	s_load_b128 s[4:7], s[0:1], 0x0
	v_bfe_u32 v1, v0, 10, 10
	v_and_b32_e32 v5, 0x3ff, v0
	v_bfe_u32 v0, v0, 20, 10
	s_waitcnt lgkmcnt(0)
	s_lshr_b32 s8, s2, 16
	s_and_b32 s3, s3, 0xffff
	v_mad_u64_u32 v[2:3], null, s14, s8, v[1:2]
	s_and_b32 s2, s2, 0xffff
	v_mad_u64_u32 v[3:4], null, s15, s3, v[0:1]
	v_mad_u64_u32 v[0:1], null, s13, s2, v[5:6]
	s_add_i32 s2, s5, -1
	s_delay_alu instid0(VALU_DEP_3) | instid1(SALU_CYCLE_1)
	v_cmp_gt_u32_e32 vcc_lo, s2, v2
	s_delay_alu instid0(VALU_DEP_3) | instskip(NEXT) | instid1(VALU_DEP_3)
	v_cmp_gt_u32_e64 s2, s6, v3
	v_cmp_gt_u32_e64 s3, s4, v0
	s_delay_alu instid0(VALU_DEP_2)
	s_and_b32 s2, vcc_lo, s2
	s_delay_alu instid0(VALU_DEP_1) | instid1(SALU_CYCLE_1)
	s_and_b32 s2, s3, s2
	s_delay_alu instid0(SALU_CYCLE_1)
	s_and_saveexec_b32 s3, s2
	s_cbranch_execz .LBB4_2
; %bb.1:
	v_max_i32_e32 v1, 1, v3
	v_mad_u64_u32 v[4:5], null, v3, s5, v[2:3]
	s_add_i32 s2, s6, -2
	v_max_i32_e32 v9, 1, v0
	s_delay_alu instid0(VALU_DEP_3)
	v_add_nc_u32_e32 v1, -1, v1
	v_min_u32_e32 v6, s2, v3
	s_clause 0x1
	s_load_b128 s[8:11], s[0:1], 0xa0
	s_load_b64 s[2:3], s[0:1], 0xb0
	v_mul_lo_u32 v11, v4, s4
	v_mad_u64_u32 v[3:4], null, v1, s5, v[2:3]
	s_delay_alu instid0(VALU_DEP_1) | instskip(NEXT) | instid1(VALU_DEP_3)
	v_mad_u64_u32 v[4:5], null, v6, s5, v[2:3]
	v_dual_mov_b32 v2, 0 :: v_dual_add_nc_u32 v1, v11, v0
	s_delay_alu instid0(VALU_DEP_1) | instskip(NEXT) | instid1(VALU_DEP_2)
	v_mad_u64_u32 v[5:6], null, v3, s4, v[0:1]
	v_mov_b32_e32 v6, v2
	s_delay_alu instid0(VALU_DEP_4)
	v_mad_u64_u32 v[7:8], null, v4, s4, v[0:1]
	s_add_i32 s4, s4, -2
	v_lshlrev_b64 v[3:4], 2, v[1:2]
	v_add3_u32 v1, v9, v11, -1
	v_min_u32_e32 v0, s4, v0
	v_mov_b32_e32 v8, v2
	v_lshlrev_b64 v[5:6], 2, v[5:6]
	s_delay_alu instid0(VALU_DEP_4) | instskip(NEXT) | instid1(VALU_DEP_4)
	v_lshlrev_b64 v[9:10], 2, v[1:2]
	v_add_nc_u32_e32 v1, v11, v0
	s_delay_alu instid0(VALU_DEP_4) | instskip(SKIP_1) | instid1(VALU_DEP_4)
	v_lshlrev_b64 v[7:8], 2, v[7:8]
	s_waitcnt lgkmcnt(0)
	v_add_co_u32 v5, vcc_lo, s10, v5
	v_add_co_ci_u32_e32 v6, vcc_lo, s11, v6, vcc_lo
	s_delay_alu instid0(VALU_DEP_3) | instskip(SKIP_4) | instid1(VALU_DEP_4)
	v_add_co_u32 v7, vcc_lo, s10, v7
	v_lshlrev_b64 v[0:1], 2, v[1:2]
	v_add_co_ci_u32_e32 v8, vcc_lo, s11, v8, vcc_lo
	v_add_co_u32 v9, vcc_lo, s2, v9
	v_add_co_ci_u32_e32 v10, vcc_lo, s3, v10, vcc_lo
	v_add_co_u32 v0, vcc_lo, s2, v0
	v_add_co_ci_u32_e32 v1, vcc_lo, s3, v1, vcc_lo
	s_clause 0x1
	global_load_b32 v2, v[5:6], off
	global_load_b32 v7, v[7:8], off
	s_clause 0x1
	global_load_b32 v8, v[9:10], off
	global_load_b32 v9, v[0:1], off
	s_clause 0x3
	s_load_b64 s[2:3], s[0:1], 0x78
	s_load_b64 s[4:5], s[0:1], 0x90
	s_load_b32 s6, s[0:1], 0x34
	s_load_b32 s1, s[0:1], 0x14
	s_waitcnt lgkmcnt(0)
	v_add_co_u32 v0, vcc_lo, s2, v3
	v_add_co_ci_u32_e32 v1, vcc_lo, s3, v4, vcc_lo
	v_add_co_u32 v5, vcc_lo, s4, v3
	v_add_co_ci_u32_e32 v6, vcc_lo, s5, v4, vcc_lo
	global_load_b32 v10, v[0:1], off
	global_load_b32 v5, v[5:6], off
	v_add_co_u32 v0, vcc_lo, s8, v3
	v_add_co_ci_u32_e32 v1, vcc_lo, s9, v4, vcc_lo
	global_load_b32 v3, v[0:1], off
	s_waitcnt vmcnt(5)
	v_sub_f32_e32 v2, v7, v2
	s_waitcnt vmcnt(1)
	v_dual_sub_f32 v4, v9, v8 :: v_dual_mul_f32 v5, s6, v5
	s_delay_alu instid0(VALU_DEP_1) | instskip(NEXT) | instid1(VALU_DEP_1)
	v_div_scale_f32 v7, null, s7, s7, v4
	v_rcp_f32_e32 v9, v7
	s_waitcnt_depctr 0xfff
	v_fma_f32 v12, -v7, v9, 1.0
	s_delay_alu instid0(VALU_DEP_1) | instskip(SKIP_2) | instid1(VALU_DEP_2)
	v_fmac_f32_e32 v9, v12, v9
	v_div_scale_f32 v6, null, s1, s1, v2
	v_div_scale_f32 v13, vcc_lo, v2, s1, v2
	v_rcp_f32_e32 v8, v6
	s_waitcnt_depctr 0xfff
	v_fma_f32 v11, -v6, v8, 1.0
	s_delay_alu instid0(VALU_DEP_1) | instskip(SKIP_1) | instid1(VALU_DEP_2)
	v_fmac_f32_e32 v8, v11, v8
	v_div_scale_f32 v11, s0, v4, s7, v4
	v_mul_f32_e32 v12, v13, v8
	s_delay_alu instid0(VALU_DEP_2) | instskip(NEXT) | instid1(VALU_DEP_2)
	v_mul_f32_e32 v14, v11, v9
	v_fma_f32 v15, -v6, v12, v13
	s_delay_alu instid0(VALU_DEP_2) | instskip(NEXT) | instid1(VALU_DEP_2)
	v_fma_f32 v16, -v7, v14, v11
	v_fmac_f32_e32 v12, v15, v8
	s_delay_alu instid0(VALU_DEP_2) | instskip(NEXT) | instid1(VALU_DEP_2)
	v_fmac_f32_e32 v14, v16, v9
	v_fma_f32 v6, -v6, v12, v13
	s_delay_alu instid0(VALU_DEP_2) | instskip(NEXT) | instid1(VALU_DEP_2)
	v_fma_f32 v7, -v7, v14, v11
	v_div_fmas_f32 v6, v6, v8, v12
	s_mov_b32 vcc_lo, s0
	v_mul_f32_e32 v8, 0x2d1bc3b8, v10
	s_delay_alu instid0(VALU_DEP_3) | instskip(NEXT) | instid1(VALU_DEP_3)
	v_div_fmas_f32 v7, v7, v9, v14
	v_div_fixup_f32 v2, v6, s1, v2
	s_delay_alu instid0(VALU_DEP_3) | instskip(NEXT) | instid1(VALU_DEP_3)
	v_add_f32_e32 v6, v8, v8
	v_div_fixup_f32 v4, v7, s7, v4
	s_delay_alu instid0(VALU_DEP_2) | instskip(NEXT) | instid1(VALU_DEP_2)
	v_div_scale_f32 v13, vcc_lo, v5, v6, v5
	v_sub_f32_e32 v2, v2, v4
	v_div_scale_f32 v4, null, v6, v6, v5
	s_delay_alu instid0(VALU_DEP_2) | instskip(NEXT) | instid1(VALU_DEP_2)
	v_div_scale_f32 v7, null, v8, v8, v2
	v_rcp_f32_e32 v9, v4
	s_delay_alu instid0(VALU_DEP_1) | instskip(SKIP_3) | instid1(VALU_DEP_2)
	v_rcp_f32_e32 v10, v7
	s_waitcnt_depctr 0xfff
	v_fma_f32 v11, -v4, v9, 1.0
	v_fma_f32 v12, -v7, v10, 1.0
	v_fmac_f32_e32 v9, v11, v9
	v_div_scale_f32 v11, s0, v2, v8, v2
	s_delay_alu instid0(VALU_DEP_3) | instskip(NEXT) | instid1(VALU_DEP_3)
	v_fmac_f32_e32 v10, v12, v10
	v_mul_f32_e32 v12, v13, v9
	s_delay_alu instid0(VALU_DEP_2) | instskip(NEXT) | instid1(VALU_DEP_2)
	v_mul_f32_e32 v14, v11, v10
	v_fma_f32 v15, -v4, v12, v13
	s_delay_alu instid0(VALU_DEP_2) | instskip(NEXT) | instid1(VALU_DEP_2)
	v_fma_f32 v16, -v7, v14, v11
	v_fmac_f32_e32 v12, v15, v9
	s_delay_alu instid0(VALU_DEP_2) | instskip(NEXT) | instid1(VALU_DEP_2)
	v_fmac_f32_e32 v14, v16, v10
	v_fma_f32 v4, -v4, v12, v13
	s_delay_alu instid0(VALU_DEP_2) | instskip(NEXT) | instid1(VALU_DEP_2)
	v_fma_f32 v7, -v7, v14, v11
	v_div_fmas_f32 v4, v4, v9, v12
	s_mov_b32 vcc_lo, s0
	s_delay_alu instid0(VALU_DEP_2) | instskip(NEXT) | instid1(VALU_DEP_2)
	v_div_fmas_f32 v7, v7, v10, v14
	v_div_fixup_f32 v4, v4, v6, v5
	s_delay_alu instid0(VALU_DEP_2) | instskip(NEXT) | instid1(VALU_DEP_2)
	v_div_fixup_f32 v2, v7, v8, v2
	v_sub_f32_e32 v5, 1.0, v4
	v_add_f32_e32 v4, 1.0, v4
	s_delay_alu instid0(VALU_DEP_3) | instskip(SKIP_1) | instid1(VALU_DEP_1)
	v_mul_f32_e32 v2, s6, v2
	s_waitcnt vmcnt(0)
	v_fmac_f32_e32 v2, v5, v3
	s_delay_alu instid0(VALU_DEP_1) | instskip(NEXT) | instid1(VALU_DEP_1)
	v_div_scale_f32 v3, null, v4, v4, v2
	v_rcp_f32_e32 v5, v3
	s_waitcnt_depctr 0xfff
	v_fma_f32 v6, -v3, v5, 1.0
	s_delay_alu instid0(VALU_DEP_1) | instskip(SKIP_1) | instid1(VALU_DEP_1)
	v_fmac_f32_e32 v5, v6, v5
	v_div_scale_f32 v6, vcc_lo, v2, v4, v2
	v_mul_f32_e32 v7, v6, v5
	s_delay_alu instid0(VALU_DEP_1) | instskip(NEXT) | instid1(VALU_DEP_1)
	v_fma_f32 v8, -v3, v7, v6
	v_fmac_f32_e32 v7, v8, v5
	s_delay_alu instid0(VALU_DEP_1) | instskip(NEXT) | instid1(VALU_DEP_1)
	v_fma_f32 v3, -v3, v7, v6
	v_div_fmas_f32 v3, v3, v5, v7
	s_delay_alu instid0(VALU_DEP_1)
	v_div_fixup_f32 v2, v3, v4, v2
	global_store_b32 v[0:1], v2, off
.LBB4_2:
	s_nop 0
	s_sendmsg sendmsg(MSG_DEALLOC_VGPRS)
	s_endpgm
	.section	.rodata,"a",@progbits
	.p2align	6, 0x0
	.amdhsa_kernel _Z15updateEy_kernel10FDTD_Setup13Medium_ParamsPfPKfS3_
		.amdhsa_group_segment_fixed_size 0
		.amdhsa_private_segment_fixed_size 0
		.amdhsa_kernarg_size 440
		.amdhsa_user_sgpr_count 13
		.amdhsa_user_sgpr_dispatch_ptr 0
		.amdhsa_user_sgpr_queue_ptr 0
		.amdhsa_user_sgpr_kernarg_segment_ptr 1
		.amdhsa_user_sgpr_dispatch_id 0
		.amdhsa_user_sgpr_private_segment_size 0
		.amdhsa_wavefront_size32 1
		.amdhsa_uses_dynamic_stack 0
		.amdhsa_enable_private_segment 0
		.amdhsa_system_sgpr_workgroup_id_x 1
		.amdhsa_system_sgpr_workgroup_id_y 1
		.amdhsa_system_sgpr_workgroup_id_z 1
		.amdhsa_system_sgpr_workgroup_info 0
		.amdhsa_system_vgpr_workitem_id 2
		.amdhsa_next_free_vgpr 17
		.amdhsa_next_free_sgpr 16
		.amdhsa_reserve_vcc 1
		.amdhsa_float_round_mode_32 0
		.amdhsa_float_round_mode_16_64 0
		.amdhsa_float_denorm_mode_32 3
		.amdhsa_float_denorm_mode_16_64 3
		.amdhsa_dx10_clamp 1
		.amdhsa_ieee_mode 1
		.amdhsa_fp16_overflow 0
		.amdhsa_workgroup_processor_mode 1
		.amdhsa_memory_ordered 1
		.amdhsa_forward_progress 0
		.amdhsa_shared_vgpr_count 0
		.amdhsa_exception_fp_ieee_invalid_op 0
		.amdhsa_exception_fp_denorm_src 0
		.amdhsa_exception_fp_ieee_div_zero 0
		.amdhsa_exception_fp_ieee_overflow 0
		.amdhsa_exception_fp_ieee_underflow 0
		.amdhsa_exception_fp_ieee_inexact 0
		.amdhsa_exception_int_div_zero 0
	.end_amdhsa_kernel
	.text
.Lfunc_end4:
	.size	_Z15updateEy_kernel10FDTD_Setup13Medium_ParamsPfPKfS3_, .Lfunc_end4-_Z15updateEy_kernel10FDTD_Setup13Medium_ParamsPfPKfS3_
                                        ; -- End function
	.section	.AMDGPU.csdata,"",@progbits
; Kernel info:
; codeLenInByte = 1096
; NumSgprs: 18
; NumVgprs: 17
; ScratchSize: 0
; MemoryBound: 0
; FloatMode: 240
; IeeeMode: 1
; LDSByteSize: 0 bytes/workgroup (compile time only)
; SGPRBlocks: 2
; VGPRBlocks: 2
; NumSGPRsForWavesPerEU: 18
; NumVGPRsForWavesPerEU: 17
; Occupancy: 16
; WaveLimiterHint : 1
; COMPUTE_PGM_RSRC2:SCRATCH_EN: 0
; COMPUTE_PGM_RSRC2:USER_SGPR: 13
; COMPUTE_PGM_RSRC2:TRAP_HANDLER: 0
; COMPUTE_PGM_RSRC2:TGID_X_EN: 1
; COMPUTE_PGM_RSRC2:TGID_Y_EN: 1
; COMPUTE_PGM_RSRC2:TGID_Z_EN: 1
; COMPUTE_PGM_RSRC2:TIDIG_COMP_CNT: 2
	.text
	.protected	_Z15updateEz_kernel10FDTD_Setup13Medium_ParamsPfPKfS3_ ; -- Begin function _Z15updateEz_kernel10FDTD_Setup13Medium_ParamsPfPKfS3_
	.globl	_Z15updateEz_kernel10FDTD_Setup13Medium_ParamsPfPKfS3_
	.p2align	8
	.type	_Z15updateEz_kernel10FDTD_Setup13Medium_ParamsPfPKfS3_,@function
_Z15updateEz_kernel10FDTD_Setup13Medium_ParamsPfPKfS3_: ; @_Z15updateEz_kernel10FDTD_Setup13Medium_ParamsPfPKfS3_
; %bb.0:
	s_clause 0x1
	s_load_b64 s[2:3], s[0:1], 0xc4
	s_load_b128 s[4:7], s[0:1], 0x0
	v_and_b32_e32 v2, 0x3ff, v0
	v_bfe_u32 v3, v0, 10, 10
	v_bfe_u32 v4, v0, 20, 10
	s_waitcnt lgkmcnt(0)
	s_lshr_b32 s7, s2, 16
	s_and_b32 s2, s2, 0xffff
	s_delay_alu instid0(SALU_CYCLE_1) | instskip(SKIP_4) | instid1(VALU_DEP_3)
	v_mad_u64_u32 v[0:1], null, s13, s2, v[2:3]
	v_mad_u64_u32 v[1:2], null, s14, s7, v[3:4]
	s_and_b32 s2, s3, 0xffff
	s_add_i32 s3, s6, -1
	v_mad_u64_u32 v[2:3], null, s15, s2, v[4:5]
	v_cmp_gt_u32_e32 vcc_lo, s4, v0
	s_delay_alu instid0(VALU_DEP_3) | instskip(NEXT) | instid1(VALU_DEP_3)
	v_cmp_gt_u32_e64 s2, s5, v1
	v_cmp_gt_u32_e64 s3, s3, v2
	s_delay_alu instid0(VALU_DEP_2)
	s_and_b32 s2, vcc_lo, s2
	s_delay_alu instid0(VALU_DEP_1) | instid1(SALU_CYCLE_1)
	s_and_b32 s2, s2, s3
	s_delay_alu instid0(SALU_CYCLE_1)
	s_and_saveexec_b32 s3, s2
	s_cbranch_execz .LBB5_2
; %bb.1:
	v_mul_lo_u32 v3, v2, s5
	v_max_i32_e32 v5, 1, v1
	s_add_i32 s5, s5, -2
	s_clause 0x1
	s_load_b64 s[2:3], s[0:1], 0xb0
	s_load_b128 s[8:11], s[0:1], 0xa0
	v_max_i32_e32 v9, 1, v0
	s_delay_alu instid0(VALU_DEP_3)
	v_add_nc_u32_e32 v4, v3, v1
	v_min_u32_e32 v1, s5, v1
	v_add3_u32 v5, v5, v3, -1
	v_mov_b32_e32 v2, 0
	s_add_i32 s5, s4, -2
	v_mul_lo_u32 v11, v4, s4
	v_add_nc_u32_e32 v7, v3, v1
	v_mad_u64_u32 v[3:4], null, v5, s4, v[0:1]
	s_delay_alu instid0(VALU_DEP_3) | instskip(NEXT) | instid1(VALU_DEP_1)
	v_dual_mov_b32 v4, v2 :: v_dual_add_nc_u32 v1, v11, v0
	v_lshlrev_b64 v[3:4], 2, v[3:4]
	s_delay_alu instid0(VALU_DEP_2)
	v_mad_u64_u32 v[5:6], null, v7, s4, v[0:1]
	v_lshlrev_b64 v[7:8], 2, v[1:2]
	v_add3_u32 v1, v9, v11, -1
	v_min_u32_e32 v0, s5, v0
	v_mov_b32_e32 v6, v2
	s_waitcnt lgkmcnt(0)
	v_add_co_u32 v3, vcc_lo, s2, v3
	v_lshlrev_b64 v[9:10], 2, v[1:2]
	v_add_nc_u32_e32 v1, v11, v0
	v_add_co_ci_u32_e32 v4, vcc_lo, s3, v4, vcc_lo
	s_load_b64 s[4:5], s[0:1], 0x98
	v_lshlrev_b64 v[5:6], 2, v[5:6]
	s_delay_alu instid0(VALU_DEP_3) | instskip(SKIP_2) | instid1(VALU_DEP_3)
	v_lshlrev_b64 v[0:1], 2, v[1:2]
	v_add_co_u32 v9, vcc_lo, s10, v9
	v_add_co_ci_u32_e32 v10, vcc_lo, s11, v10, vcc_lo
	v_add_co_u32 v0, vcc_lo, s10, v0
	s_delay_alu instid0(VALU_DEP_4)
	v_add_co_ci_u32_e32 v1, vcc_lo, s11, v1, vcc_lo
	v_add_co_u32 v5, vcc_lo, s2, v5
	v_add_co_ci_u32_e32 v6, vcc_lo, s3, v6, vcc_lo
	s_clause 0x1
	global_load_b32 v9, v[9:10], off
	global_load_b32 v10, v[0:1], off
	s_clause 0x1
	global_load_b32 v4, v[3:4], off
	global_load_b32 v5, v[5:6], off
	s_clause 0x1
	s_load_b64 s[2:3], s[0:1], 0x80
	s_load_b32 s6, s[0:1], 0x34
	s_waitcnt lgkmcnt(0)
	v_add_co_u32 v0, vcc_lo, s2, v7
	v_add_co_ci_u32_e32 v1, vcc_lo, s3, v8, vcc_lo
	v_add_co_u32 v2, vcc_lo, s4, v7
	v_add_co_ci_u32_e32 v3, vcc_lo, s5, v8, vcc_lo
	global_load_b32 v6, v[0:1], off
	global_load_b32 v2, v[2:3], off
	v_add_co_u32 v0, vcc_lo, s8, v7
	v_add_co_ci_u32_e32 v1, vcc_lo, s9, v8, vcc_lo
	global_load_b32 v3, v[0:1], off
	s_clause 0x1
	s_load_b32 s2, s[0:1], 0xc
	s_load_b32 s1, s[0:1], 0x14
	s_waitcnt vmcnt(3)
	v_dual_sub_f32 v7, v10, v9 :: v_dual_sub_f32 v4, v5, v4
	s_waitcnt lgkmcnt(0)
	s_delay_alu instid0(VALU_DEP_1) | instskip(NEXT) | instid1(VALU_DEP_2)
	v_div_scale_f32 v5, null, s2, s2, v7
	v_div_scale_f32 v8, null, s1, s1, v4
	v_div_scale_f32 v13, vcc_lo, v7, s2, v7
	s_delay_alu instid0(VALU_DEP_3) | instskip(NEXT) | instid1(VALU_DEP_2)
	v_rcp_f32_e32 v9, v5
	v_rcp_f32_e32 v10, v8
	s_waitcnt_depctr 0xfff
	v_fma_f32 v11, -v5, v9, 1.0
	v_fma_f32 v12, -v8, v10, 1.0
	s_delay_alu instid0(VALU_DEP_1) | instskip(SKIP_1) | instid1(VALU_DEP_2)
	v_dual_fmac_f32 v9, v11, v9 :: v_dual_fmac_f32 v10, v12, v10
	v_div_scale_f32 v11, s0, v4, s1, v4
	v_mul_f32_e32 v12, v13, v9
	s_waitcnt vmcnt(2)
	v_mul_f32_e32 v6, 0x2d1bc3b8, v6
	s_delay_alu instid0(VALU_DEP_3) | instskip(SKIP_3) | instid1(VALU_DEP_3)
	v_mul_f32_e32 v14, v11, v10
	s_waitcnt vmcnt(1)
	v_mul_f32_e32 v2, s6, v2
	v_fma_f32 v15, -v5, v12, v13
	v_fma_f32 v16, -v8, v14, v11
	s_delay_alu instid0(VALU_DEP_2) | instskip(NEXT) | instid1(VALU_DEP_2)
	v_fmac_f32_e32 v12, v15, v9
	v_fmac_f32_e32 v14, v16, v10
	s_delay_alu instid0(VALU_DEP_2) | instskip(NEXT) | instid1(VALU_DEP_2)
	v_fma_f32 v5, -v5, v12, v13
	v_fma_f32 v8, -v8, v14, v11
	s_delay_alu instid0(VALU_DEP_2) | instskip(SKIP_1) | instid1(VALU_DEP_2)
	v_div_fmas_f32 v5, v5, v9, v12
	s_mov_b32 vcc_lo, s0
	v_div_fmas_f32 v8, v8, v10, v14
	s_delay_alu instid0(VALU_DEP_2) | instskip(SKIP_1) | instid1(VALU_DEP_3)
	v_div_fixup_f32 v5, v5, s2, v7
	v_add_f32_e32 v7, v6, v6
	v_div_fixup_f32 v4, v8, s1, v4
	s_delay_alu instid0(VALU_DEP_2) | instskip(NEXT) | instid1(VALU_DEP_2)
	v_div_scale_f32 v13, vcc_lo, v2, v7, v2
	v_sub_f32_e32 v4, v5, v4
	v_div_scale_f32 v5, null, v7, v7, v2
	s_delay_alu instid0(VALU_DEP_2) | instskip(NEXT) | instid1(VALU_DEP_2)
	v_div_scale_f32 v8, null, v6, v6, v4
	v_rcp_f32_e32 v9, v5
	s_delay_alu instid0(VALU_DEP_1) | instskip(SKIP_3) | instid1(VALU_DEP_2)
	v_rcp_f32_e32 v10, v8
	s_waitcnt_depctr 0xfff
	v_fma_f32 v11, -v5, v9, 1.0
	v_fma_f32 v12, -v8, v10, 1.0
	v_fmac_f32_e32 v9, v11, v9
	v_div_scale_f32 v11, s0, v4, v6, v4
	s_delay_alu instid0(VALU_DEP_3) | instskip(NEXT) | instid1(VALU_DEP_3)
	v_fmac_f32_e32 v10, v12, v10
	v_mul_f32_e32 v12, v13, v9
	s_delay_alu instid0(VALU_DEP_2) | instskip(NEXT) | instid1(VALU_DEP_2)
	v_mul_f32_e32 v14, v11, v10
	v_fma_f32 v15, -v5, v12, v13
	s_delay_alu instid0(VALU_DEP_2) | instskip(NEXT) | instid1(VALU_DEP_2)
	v_fma_f32 v16, -v8, v14, v11
	v_fmac_f32_e32 v12, v15, v9
	s_delay_alu instid0(VALU_DEP_2) | instskip(NEXT) | instid1(VALU_DEP_2)
	v_fmac_f32_e32 v14, v16, v10
	v_fma_f32 v5, -v5, v12, v13
	s_delay_alu instid0(VALU_DEP_2) | instskip(NEXT) | instid1(VALU_DEP_2)
	v_fma_f32 v8, -v8, v14, v11
	v_div_fmas_f32 v5, v5, v9, v12
	s_mov_b32 vcc_lo, s0
	s_delay_alu instid0(VALU_DEP_2) | instskip(NEXT) | instid1(VALU_DEP_2)
	v_div_fmas_f32 v8, v8, v10, v14
	v_div_fixup_f32 v2, v5, v7, v2
	s_delay_alu instid0(VALU_DEP_2) | instskip(NEXT) | instid1(VALU_DEP_2)
	v_div_fixup_f32 v4, v8, v6, v4
	v_sub_f32_e32 v5, 1.0, v2
	v_add_f32_e32 v2, 1.0, v2
	s_delay_alu instid0(VALU_DEP_3) | instskip(SKIP_1) | instid1(VALU_DEP_1)
	v_mul_f32_e32 v4, s6, v4
	s_waitcnt vmcnt(0)
	v_fmac_f32_e32 v4, v5, v3
	s_delay_alu instid0(VALU_DEP_1) | instskip(NEXT) | instid1(VALU_DEP_1)
	v_div_scale_f32 v3, null, v2, v2, v4
	v_rcp_f32_e32 v5, v3
	s_waitcnt_depctr 0xfff
	v_fma_f32 v6, -v3, v5, 1.0
	s_delay_alu instid0(VALU_DEP_1) | instskip(SKIP_1) | instid1(VALU_DEP_1)
	v_fmac_f32_e32 v5, v6, v5
	v_div_scale_f32 v6, vcc_lo, v4, v2, v4
	v_mul_f32_e32 v7, v6, v5
	s_delay_alu instid0(VALU_DEP_1) | instskip(NEXT) | instid1(VALU_DEP_1)
	v_fma_f32 v8, -v3, v7, v6
	v_fmac_f32_e32 v7, v8, v5
	s_delay_alu instid0(VALU_DEP_1) | instskip(NEXT) | instid1(VALU_DEP_1)
	v_fma_f32 v3, -v3, v7, v6
	v_div_fmas_f32 v3, v3, v5, v7
	s_delay_alu instid0(VALU_DEP_1)
	v_div_fixup_f32 v2, v3, v2, v4
	global_store_b32 v[0:1], v2, off
.LBB5_2:
	s_nop 0
	s_sendmsg sendmsg(MSG_DEALLOC_VGPRS)
	s_endpgm
	.section	.rodata,"a",@progbits
	.p2align	6, 0x0
	.amdhsa_kernel _Z15updateEz_kernel10FDTD_Setup13Medium_ParamsPfPKfS3_
		.amdhsa_group_segment_fixed_size 0
		.amdhsa_private_segment_fixed_size 0
		.amdhsa_kernarg_size 440
		.amdhsa_user_sgpr_count 13
		.amdhsa_user_sgpr_dispatch_ptr 0
		.amdhsa_user_sgpr_queue_ptr 0
		.amdhsa_user_sgpr_kernarg_segment_ptr 1
		.amdhsa_user_sgpr_dispatch_id 0
		.amdhsa_user_sgpr_private_segment_size 0
		.amdhsa_wavefront_size32 1
		.amdhsa_uses_dynamic_stack 0
		.amdhsa_enable_private_segment 0
		.amdhsa_system_sgpr_workgroup_id_x 1
		.amdhsa_system_sgpr_workgroup_id_y 1
		.amdhsa_system_sgpr_workgroup_id_z 1
		.amdhsa_system_sgpr_workgroup_info 0
		.amdhsa_system_vgpr_workitem_id 2
		.amdhsa_next_free_vgpr 17
		.amdhsa_next_free_sgpr 16
		.amdhsa_reserve_vcc 1
		.amdhsa_float_round_mode_32 0
		.amdhsa_float_round_mode_16_64 0
		.amdhsa_float_denorm_mode_32 3
		.amdhsa_float_denorm_mode_16_64 3
		.amdhsa_dx10_clamp 1
		.amdhsa_ieee_mode 1
		.amdhsa_fp16_overflow 0
		.amdhsa_workgroup_processor_mode 1
		.amdhsa_memory_ordered 1
		.amdhsa_forward_progress 0
		.amdhsa_shared_vgpr_count 0
		.amdhsa_exception_fp_ieee_invalid_op 0
		.amdhsa_exception_fp_denorm_src 0
		.amdhsa_exception_fp_ieee_div_zero 0
		.amdhsa_exception_fp_ieee_overflow 0
		.amdhsa_exception_fp_ieee_underflow 0
		.amdhsa_exception_fp_ieee_inexact 0
		.amdhsa_exception_int_div_zero 0
	.end_amdhsa_kernel
	.text
.Lfunc_end5:
	.size	_Z15updateEz_kernel10FDTD_Setup13Medium_ParamsPfPKfS3_, .Lfunc_end5-_Z15updateEz_kernel10FDTD_Setup13Medium_ParamsPfPKfS3_
                                        ; -- End function
	.section	.AMDGPU.csdata,"",@progbits
; Kernel info:
; codeLenInByte = 1096
; NumSgprs: 18
; NumVgprs: 17
; ScratchSize: 0
; MemoryBound: 0
; FloatMode: 240
; IeeeMode: 1
; LDSByteSize: 0 bytes/workgroup (compile time only)
; SGPRBlocks: 2
; VGPRBlocks: 2
; NumSGPRsForWavesPerEU: 18
; NumVGPRsForWavesPerEU: 17
; Occupancy: 16
; WaveLimiterHint : 1
; COMPUTE_PGM_RSRC2:SCRATCH_EN: 0
; COMPUTE_PGM_RSRC2:USER_SGPR: 13
; COMPUTE_PGM_RSRC2:TRAP_HANDLER: 0
; COMPUTE_PGM_RSRC2:TGID_X_EN: 1
; COMPUTE_PGM_RSRC2:TGID_Y_EN: 1
; COMPUTE_PGM_RSRC2:TGID_Z_EN: 1
; COMPUTE_PGM_RSRC2:TIDIG_COMP_CNT: 2
	.text
	.p2alignl 7, 3214868480
	.fill 96, 4, 3214868480
	.type	__hip_cuid_47403cae6102b14,@object ; @__hip_cuid_47403cae6102b14
	.section	.bss,"aw",@nobits
	.globl	__hip_cuid_47403cae6102b14
__hip_cuid_47403cae6102b14:
	.byte	0                               ; 0x0
	.size	__hip_cuid_47403cae6102b14, 1

	.ident	"AMD clang version 19.0.0git (https://github.com/RadeonOpenCompute/llvm-project roc-6.4.0 25133 c7fe45cf4b819c5991fe208aaa96edf142730f1d)"
	.section	".note.GNU-stack","",@progbits
	.addrsig
	.addrsig_sym __hip_cuid_47403cae6102b14
	.amdgpu_metadata
---
amdhsa.kernels:
  - .args:
      - .offset:         0
        .size:           60
        .value_kind:     by_value
      - .address_space:  global
        .offset:         64
        .size:           8
        .value_kind:     global_buffer
      - .offset:         72
        .size:           4
        .value_kind:     by_value
    .group_segment_fixed_size: 0
    .kernarg_segment_align: 8
    .kernarg_segment_size: 76
    .language:       OpenCL C
    .language_version:
      - 2
      - 0
    .max_flat_workgroup_size: 1024
    .name:           _Z19apply_source_kernel10FDTD_SetupPff
    .private_segment_fixed_size: 0
    .sgpr_count:     16
    .sgpr_spill_count: 0
    .symbol:         _Z19apply_source_kernel10FDTD_SetupPff.kd
    .uniform_work_group_size: 1
    .uses_dynamic_stack: false
    .vgpr_count:     2
    .vgpr_spill_count: 0
    .wavefront_size: 32
    .workgroup_processor_mode: 1
  - .args:
      - .offset:         0
        .size:           60
        .value_kind:     by_value
      - .offset:         64
        .size:           96
        .value_kind:     by_value
      - .address_space:  global
        .offset:         160
        .size:           8
        .value_kind:     global_buffer
      - .address_space:  global
        .offset:         168
        .size:           8
        .value_kind:     global_buffer
      - .address_space:  global
        .offset:         176
        .size:           8
        .value_kind:     global_buffer
      - .offset:         184
        .size:           4
        .value_kind:     hidden_block_count_x
      - .offset:         188
        .size:           4
        .value_kind:     hidden_block_count_y
      - .offset:         192
        .size:           4
        .value_kind:     hidden_block_count_z
      - .offset:         196
        .size:           2
        .value_kind:     hidden_group_size_x
      - .offset:         198
        .size:           2
        .value_kind:     hidden_group_size_y
      - .offset:         200
        .size:           2
        .value_kind:     hidden_group_size_z
      - .offset:         202
        .size:           2
        .value_kind:     hidden_remainder_x
      - .offset:         204
        .size:           2
        .value_kind:     hidden_remainder_y
      - .offset:         206
        .size:           2
        .value_kind:     hidden_remainder_z
      - .offset:         224
        .size:           8
        .value_kind:     hidden_global_offset_x
      - .offset:         232
        .size:           8
        .value_kind:     hidden_global_offset_y
      - .offset:         240
        .size:           8
        .value_kind:     hidden_global_offset_z
      - .offset:         248
        .size:           2
        .value_kind:     hidden_grid_dims
    .group_segment_fixed_size: 0
    .kernarg_segment_align: 8
    .kernarg_segment_size: 440
    .language:       OpenCL C
    .language_version:
      - 2
      - 0
    .max_flat_workgroup_size: 1024
    .name:           _Z15updateHx_kernel10FDTD_Setup13Medium_ParamsPfPKfS3_
    .private_segment_fixed_size: 0
    .sgpr_count:     18
    .sgpr_spill_count: 0
    .symbol:         _Z15updateHx_kernel10FDTD_Setup13Medium_ParamsPfPKfS3_.kd
    .uniform_work_group_size: 1
    .uses_dynamic_stack: false
    .vgpr_count:     17
    .vgpr_spill_count: 0
    .wavefront_size: 32
    .workgroup_processor_mode: 1
  - .args:
      - .offset:         0
        .size:           60
        .value_kind:     by_value
      - .address_space:  global
        .offset:         64
        .size:           8
        .value_kind:     global_buffer
      - .address_space:  global
        .offset:         72
        .size:           8
        .value_kind:     global_buffer
      - .address_space:  global
        .offset:         80
        .size:           8
        .value_kind:     global_buffer
      - .address_space:  global
        .offset:         88
        .size:           8
        .value_kind:     global_buffer
      - .address_space:  global
        .offset:         96
        .size:           8
        .value_kind:     global_buffer
      - .offset:         104
        .size:           4
        .value_kind:     by_value
      - .offset:         108
        .size:           4
        .value_kind:     by_value
      - .offset:         112
        .size:           4
        .value_kind:     by_value
      - .offset:         116
        .size:           4
        .value_kind:     by_value
      - .offset:         120
        .size:           4
        .value_kind:     by_value
      - .offset:         124
        .size:           4
        .value_kind:     by_value
      - .offset:         128
        .size:           4
        .value_kind:     by_value
      - .offset:         136
        .size:           4
        .value_kind:     hidden_block_count_x
      - .offset:         140
        .size:           4
        .value_kind:     hidden_block_count_y
      - .offset:         144
        .size:           4
        .value_kind:     hidden_block_count_z
      - .offset:         148
        .size:           2
        .value_kind:     hidden_group_size_x
      - .offset:         150
        .size:           2
        .value_kind:     hidden_group_size_y
      - .offset:         152
        .size:           2
        .value_kind:     hidden_group_size_z
      - .offset:         154
        .size:           2
        .value_kind:     hidden_remainder_x
      - .offset:         156
        .size:           2
        .value_kind:     hidden_remainder_y
      - .offset:         158
        .size:           2
        .value_kind:     hidden_remainder_z
      - .offset:         176
        .size:           8
        .value_kind:     hidden_global_offset_x
      - .offset:         184
        .size:           8
        .value_kind:     hidden_global_offset_y
      - .offset:         192
        .size:           8
        .value_kind:     hidden_global_offset_z
      - .offset:         200
        .size:           2
        .value_kind:     hidden_grid_dims
    .group_segment_fixed_size: 0
    .kernarg_segment_align: 8
    .kernarg_segment_size: 392
    .language:       OpenCL C
    .language_version:
      - 2
      - 0
    .max_flat_workgroup_size: 1024
    .name:           _Z14updateH_kernel10FDTD_SetupPfPKfS2_S0_S0_ffjjjjj
    .private_segment_fixed_size: 0
    .sgpr_count:     19
    .sgpr_spill_count: 0
    .symbol:         _Z14updateH_kernel10FDTD_SetupPfPKfS2_S0_S0_ffjjjjj.kd
    .uniform_work_group_size: 1
    .uses_dynamic_stack: false
    .vgpr_count:     17
    .vgpr_spill_count: 0
    .wavefront_size: 32
    .workgroup_processor_mode: 1
  - .args:
      - .offset:         0
        .size:           60
        .value_kind:     by_value
      - .offset:         64
        .size:           96
        .value_kind:     by_value
      - .address_space:  global
        .offset:         160
        .size:           8
        .value_kind:     global_buffer
      - .address_space:  global
        .offset:         168
        .size:           8
        .value_kind:     global_buffer
      - .address_space:  global
        .offset:         176
        .size:           8
        .value_kind:     global_buffer
      - .offset:         184
        .size:           4
        .value_kind:     hidden_block_count_x
      - .offset:         188
        .size:           4
        .value_kind:     hidden_block_count_y
      - .offset:         192
        .size:           4
        .value_kind:     hidden_block_count_z
      - .offset:         196
        .size:           2
        .value_kind:     hidden_group_size_x
      - .offset:         198
        .size:           2
        .value_kind:     hidden_group_size_y
      - .offset:         200
        .size:           2
        .value_kind:     hidden_group_size_z
      - .offset:         202
        .size:           2
        .value_kind:     hidden_remainder_x
      - .offset:         204
        .size:           2
        .value_kind:     hidden_remainder_y
      - .offset:         206
        .size:           2
        .value_kind:     hidden_remainder_z
      - .offset:         224
        .size:           8
        .value_kind:     hidden_global_offset_x
      - .offset:         232
        .size:           8
        .value_kind:     hidden_global_offset_y
      - .offset:         240
        .size:           8
        .value_kind:     hidden_global_offset_z
      - .offset:         248
        .size:           2
        .value_kind:     hidden_grid_dims
    .group_segment_fixed_size: 0
    .kernarg_segment_align: 8
    .kernarg_segment_size: 440
    .language:       OpenCL C
    .language_version:
      - 2
      - 0
    .max_flat_workgroup_size: 1024
    .name:           _Z15updateEx_kernel10FDTD_Setup13Medium_ParamsPfPKfS3_
    .private_segment_fixed_size: 0
    .sgpr_count:     18
    .sgpr_spill_count: 0
    .symbol:         _Z15updateEx_kernel10FDTD_Setup13Medium_ParamsPfPKfS3_.kd
    .uniform_work_group_size: 1
    .uses_dynamic_stack: false
    .vgpr_count:     17
    .vgpr_spill_count: 0
    .wavefront_size: 32
    .workgroup_processor_mode: 1
  - .args:
      - .offset:         0
        .size:           60
        .value_kind:     by_value
      - .offset:         64
        .size:           96
        .value_kind:     by_value
      - .address_space:  global
        .offset:         160
        .size:           8
        .value_kind:     global_buffer
      - .address_space:  global
        .offset:         168
        .size:           8
        .value_kind:     global_buffer
      - .address_space:  global
        .offset:         176
        .size:           8
        .value_kind:     global_buffer
      - .offset:         184
        .size:           4
        .value_kind:     hidden_block_count_x
      - .offset:         188
        .size:           4
        .value_kind:     hidden_block_count_y
      - .offset:         192
        .size:           4
        .value_kind:     hidden_block_count_z
      - .offset:         196
        .size:           2
        .value_kind:     hidden_group_size_x
      - .offset:         198
        .size:           2
        .value_kind:     hidden_group_size_y
      - .offset:         200
        .size:           2
        .value_kind:     hidden_group_size_z
      - .offset:         202
        .size:           2
        .value_kind:     hidden_remainder_x
      - .offset:         204
        .size:           2
        .value_kind:     hidden_remainder_y
      - .offset:         206
        .size:           2
        .value_kind:     hidden_remainder_z
      - .offset:         224
        .size:           8
        .value_kind:     hidden_global_offset_x
      - .offset:         232
        .size:           8
        .value_kind:     hidden_global_offset_y
      - .offset:         240
        .size:           8
        .value_kind:     hidden_global_offset_z
      - .offset:         248
        .size:           2
        .value_kind:     hidden_grid_dims
    .group_segment_fixed_size: 0
    .kernarg_segment_align: 8
    .kernarg_segment_size: 440
    .language:       OpenCL C
    .language_version:
      - 2
      - 0
    .max_flat_workgroup_size: 1024
    .name:           _Z15updateEy_kernel10FDTD_Setup13Medium_ParamsPfPKfS3_
    .private_segment_fixed_size: 0
    .sgpr_count:     18
    .sgpr_spill_count: 0
    .symbol:         _Z15updateEy_kernel10FDTD_Setup13Medium_ParamsPfPKfS3_.kd
    .uniform_work_group_size: 1
    .uses_dynamic_stack: false
    .vgpr_count:     17
    .vgpr_spill_count: 0
    .wavefront_size: 32
    .workgroup_processor_mode: 1
  - .args:
      - .offset:         0
        .size:           60
        .value_kind:     by_value
      - .offset:         64
        .size:           96
        .value_kind:     by_value
      - .address_space:  global
        .offset:         160
        .size:           8
        .value_kind:     global_buffer
      - .address_space:  global
        .offset:         168
        .size:           8
        .value_kind:     global_buffer
      - .address_space:  global
        .offset:         176
        .size:           8
        .value_kind:     global_buffer
      - .offset:         184
        .size:           4
        .value_kind:     hidden_block_count_x
      - .offset:         188
        .size:           4
        .value_kind:     hidden_block_count_y
      - .offset:         192
        .size:           4
        .value_kind:     hidden_block_count_z
      - .offset:         196
        .size:           2
        .value_kind:     hidden_group_size_x
      - .offset:         198
        .size:           2
        .value_kind:     hidden_group_size_y
      - .offset:         200
        .size:           2
        .value_kind:     hidden_group_size_z
      - .offset:         202
        .size:           2
        .value_kind:     hidden_remainder_x
      - .offset:         204
        .size:           2
        .value_kind:     hidden_remainder_y
      - .offset:         206
        .size:           2
        .value_kind:     hidden_remainder_z
      - .offset:         224
        .size:           8
        .value_kind:     hidden_global_offset_x
      - .offset:         232
        .size:           8
        .value_kind:     hidden_global_offset_y
      - .offset:         240
        .size:           8
        .value_kind:     hidden_global_offset_z
      - .offset:         248
        .size:           2
        .value_kind:     hidden_grid_dims
    .group_segment_fixed_size: 0
    .kernarg_segment_align: 8
    .kernarg_segment_size: 440
    .language:       OpenCL C
    .language_version:
      - 2
      - 0
    .max_flat_workgroup_size: 1024
    .name:           _Z15updateEz_kernel10FDTD_Setup13Medium_ParamsPfPKfS3_
    .private_segment_fixed_size: 0
    .sgpr_count:     18
    .sgpr_spill_count: 0
    .symbol:         _Z15updateEz_kernel10FDTD_Setup13Medium_ParamsPfPKfS3_.kd
    .uniform_work_group_size: 1
    .uses_dynamic_stack: false
    .vgpr_count:     17
    .vgpr_spill_count: 0
    .wavefront_size: 32
    .workgroup_processor_mode: 1
amdhsa.target:   amdgcn-amd-amdhsa--gfx1100
amdhsa.version:
  - 1
  - 2
...

	.end_amdgpu_metadata
